;; amdgpu-corpus repo=ROCm/rocFFT kind=compiled arch=gfx950 opt=O3
	.text
	.amdgcn_target "amdgcn-amd-amdhsa--gfx950"
	.amdhsa_code_object_version 6
	.protected	fft_rtc_back_len242_factors_11_2_11_wgs_110_tpt_22_sp_op_CI_CI_unitstride_sbrr_dirReg ; -- Begin function fft_rtc_back_len242_factors_11_2_11_wgs_110_tpt_22_sp_op_CI_CI_unitstride_sbrr_dirReg
	.globl	fft_rtc_back_len242_factors_11_2_11_wgs_110_tpt_22_sp_op_CI_CI_unitstride_sbrr_dirReg
	.p2align	8
	.type	fft_rtc_back_len242_factors_11_2_11_wgs_110_tpt_22_sp_op_CI_CI_unitstride_sbrr_dirReg,@function
fft_rtc_back_len242_factors_11_2_11_wgs_110_tpt_22_sp_op_CI_CI_unitstride_sbrr_dirReg: ; @fft_rtc_back_len242_factors_11_2_11_wgs_110_tpt_22_sp_op_CI_CI_unitstride_sbrr_dirReg
; %bb.0:
	s_load_dwordx4 s[4:7], s[0:1], 0x58
	s_load_dwordx4 s[8:11], s[0:1], 0x0
	;; [unrolled: 1-line block ×3, first 2 shown]
	v_mul_u32_u24_e32 v1, 0xba3, v0
	v_lshrrev_b32_e32 v2, 16, v1
	v_mad_u64_u32 v[2:3], s[2:3], s2, 5, v[2:3]
	v_mov_b32_e32 v4, 0
	v_mov_b32_e32 v3, v4
	s_waitcnt lgkmcnt(0)
	v_cmp_lt_u64_e64 s[2:3], s[10:11], 2
	v_mov_b64_e32 v[6:7], 0
	s_and_b64 vcc, exec, s[2:3]
	v_mov_b64_e32 v[20:21], v[6:7]
	v_mov_b64_e32 v[22:23], v[2:3]
	s_cbranch_vccnz .LBB0_8
; %bb.1:
	s_load_dwordx2 s[2:3], s[0:1], 0x10
	s_add_u32 s16, s14, 8
	s_addc_u32 s17, s15, 0
	s_add_u32 s18, s12, 8
	s_addc_u32 s19, s13, 0
	s_waitcnt lgkmcnt(0)
	s_add_u32 s20, s2, 8
	v_mov_b64_e32 v[6:7], 0
	s_addc_u32 s21, s3, 0
	s_mov_b64 s[22:23], 1
	v_mov_b64_e32 v[20:21], v[6:7]
	v_mov_b64_e32 v[8:9], v[2:3]
.LBB0_2:                                ; =>This Inner Loop Header: Depth=1
	s_load_dwordx2 s[24:25], s[20:21], 0x0
                                        ; implicit-def: $vgpr22_vgpr23
	s_waitcnt lgkmcnt(0)
	v_or_b32_e32 v5, s25, v9
	v_cmp_ne_u64_e32 vcc, 0, v[4:5]
	s_and_saveexec_b64 s[2:3], vcc
	s_xor_b64 s[26:27], exec, s[2:3]
	s_cbranch_execz .LBB0_4
; %bb.3:                                ;   in Loop: Header=BB0_2 Depth=1
	v_cvt_f32_u32_e32 v1, s24
	v_cvt_f32_u32_e32 v3, s25
	s_sub_u32 s2, 0, s24
	s_subb_u32 s3, 0, s25
	v_fmac_f32_e32 v1, 0x4f800000, v3
	v_rcp_f32_e32 v1, v1
	s_nop 0
	v_mul_f32_e32 v1, 0x5f7ffffc, v1
	v_mul_f32_e32 v3, 0x2f800000, v1
	v_trunc_f32_e32 v3, v3
	v_fmac_f32_e32 v1, 0xcf800000, v3
	v_cvt_u32_f32_e32 v3, v3
	v_cvt_u32_f32_e32 v1, v1
	v_mul_lo_u32 v5, s2, v3
	v_mul_hi_u32 v10, s2, v1
	v_mul_lo_u32 v11, s3, v1
	v_add_u32_e32 v5, v10, v5
	v_mul_lo_u32 v14, s2, v1
	v_add_u32_e32 v5, v5, v11
	v_mul_hi_u32 v10, v1, v14
	v_mul_hi_u32 v13, v1, v5
	v_mul_lo_u32 v12, v1, v5
	v_mov_b32_e32 v11, v4
	v_lshl_add_u64 v[10:11], v[10:11], 0, v[12:13]
	v_mul_hi_u32 v13, v3, v14
	v_mul_lo_u32 v14, v3, v14
	v_add_co_u32_e32 v10, vcc, v10, v14
	v_mul_hi_u32 v12, v3, v5
	s_nop 0
	v_addc_co_u32_e32 v10, vcc, v11, v13, vcc
	v_mov_b32_e32 v11, v4
	s_nop 0
	v_addc_co_u32_e32 v13, vcc, 0, v12, vcc
	v_mul_lo_u32 v12, v3, v5
	v_lshl_add_u64 v[10:11], v[10:11], 0, v[12:13]
	v_add_co_u32_e32 v1, vcc, v1, v10
	v_mul_hi_u32 v10, s2, v1
	s_nop 0
	v_addc_co_u32_e32 v3, vcc, v3, v11, vcc
	v_mul_lo_u32 v5, s2, v3
	v_add_u32_e32 v5, v10, v5
	v_mul_lo_u32 v10, s3, v1
	v_add_u32_e32 v5, v5, v10
	v_mul_lo_u32 v12, s2, v1
	v_mul_hi_u32 v15, v3, v12
	v_mul_lo_u32 v16, v3, v12
	v_mul_hi_u32 v11, v1, v5
	;; [unrolled: 2-line block ×3, first 2 shown]
	v_mov_b32_e32 v13, v4
	v_lshl_add_u64 v[10:11], v[12:13], 0, v[10:11]
	v_add_co_u32_e32 v10, vcc, v10, v16
	v_mul_hi_u32 v14, v3, v5
	s_nop 0
	v_addc_co_u32_e32 v10, vcc, v11, v15, vcc
	v_mul_lo_u32 v12, v3, v5
	s_nop 0
	v_addc_co_u32_e32 v13, vcc, 0, v14, vcc
	v_mov_b32_e32 v11, v4
	v_lshl_add_u64 v[10:11], v[10:11], 0, v[12:13]
	v_add_co_u32_e32 v1, vcc, v1, v10
	v_mul_hi_u32 v12, v8, v1
	s_nop 0
	v_addc_co_u32_e32 v3, vcc, v3, v11, vcc
	v_mad_u64_u32 v[10:11], s[2:3], v8, v3, 0
	v_mov_b32_e32 v13, v4
	v_lshl_add_u64 v[10:11], v[12:13], 0, v[10:11]
	v_mad_u64_u32 v[14:15], s[2:3], v9, v1, 0
	v_add_co_u32_e32 v1, vcc, v10, v14
	v_mad_u64_u32 v[12:13], s[2:3], v9, v3, 0
	s_nop 0
	v_addc_co_u32_e32 v10, vcc, v11, v15, vcc
	v_mov_b32_e32 v11, v4
	s_nop 0
	v_addc_co_u32_e32 v13, vcc, 0, v13, vcc
	v_lshl_add_u64 v[10:11], v[10:11], 0, v[12:13]
	v_mul_lo_u32 v1, s25, v10
	v_mul_lo_u32 v3, s24, v11
	v_mad_u64_u32 v[12:13], s[2:3], s24, v10, 0
	v_add3_u32 v1, v13, v3, v1
	v_sub_u32_e32 v3, v9, v1
	v_mov_b32_e32 v5, s25
	v_sub_co_u32_e32 v16, vcc, v8, v12
	v_lshl_add_u64 v[14:15], v[10:11], 0, 1
	s_nop 0
	v_subb_co_u32_e64 v3, s[2:3], v3, v5, vcc
	v_subrev_co_u32_e64 v5, s[2:3], s24, v16
	v_subb_co_u32_e32 v1, vcc, v9, v1, vcc
	s_nop 0
	v_subbrev_co_u32_e64 v3, s[2:3], 0, v3, s[2:3]
	v_cmp_le_u32_e64 s[2:3], s25, v3
	v_cmp_le_u32_e32 vcc, s25, v1
	s_nop 0
	v_cndmask_b32_e64 v12, 0, -1, s[2:3]
	v_cmp_le_u32_e64 s[2:3], s24, v5
	s_nop 1
	v_cndmask_b32_e64 v5, 0, -1, s[2:3]
	v_cmp_eq_u32_e64 s[2:3], s25, v3
	s_nop 1
	v_cndmask_b32_e64 v3, v12, v5, s[2:3]
	v_lshl_add_u64 v[12:13], v[10:11], 0, 2
	v_cmp_ne_u32_e64 s[2:3], 0, v3
	v_cndmask_b32_e64 v5, 0, -1, vcc
	v_cmp_le_u32_e32 vcc, s24, v16
	v_cndmask_b32_e64 v3, v15, v13, s[2:3]
	s_nop 0
	v_cndmask_b32_e64 v13, 0, -1, vcc
	v_cmp_eq_u32_e32 vcc, s25, v1
	s_nop 1
	v_cndmask_b32_e32 v1, v5, v13, vcc
	v_cmp_ne_u32_e32 vcc, 0, v1
	v_cndmask_b32_e64 v1, v14, v12, s[2:3]
	s_nop 0
	v_cndmask_b32_e32 v23, v11, v3, vcc
	v_cndmask_b32_e32 v22, v10, v1, vcc
.LBB0_4:                                ;   in Loop: Header=BB0_2 Depth=1
	s_andn2_saveexec_b64 s[2:3], s[26:27]
	s_cbranch_execz .LBB0_6
; %bb.5:                                ;   in Loop: Header=BB0_2 Depth=1
	v_cvt_f32_u32_e32 v1, s24
	s_sub_i32 s26, 0, s24
	v_mov_b32_e32 v23, v4
	v_rcp_iflag_f32_e32 v1, v1
	s_nop 0
	v_mul_f32_e32 v1, 0x4f7ffffe, v1
	v_cvt_u32_f32_e32 v1, v1
	v_mul_lo_u32 v3, s26, v1
	v_mul_hi_u32 v3, v1, v3
	v_add_u32_e32 v1, v1, v3
	v_mul_hi_u32 v1, v8, v1
	v_mul_lo_u32 v3, v1, s24
	v_sub_u32_e32 v3, v8, v3
	v_add_u32_e32 v5, 1, v1
	v_subrev_u32_e32 v10, s24, v3
	v_cmp_le_u32_e32 vcc, s24, v3
	s_nop 1
	v_cndmask_b32_e32 v3, v3, v10, vcc
	v_cndmask_b32_e32 v1, v1, v5, vcc
	v_add_u32_e32 v5, 1, v1
	v_cmp_le_u32_e32 vcc, s24, v3
	s_nop 1
	v_cndmask_b32_e32 v22, v1, v5, vcc
.LBB0_6:                                ;   in Loop: Header=BB0_2 Depth=1
	s_or_b64 exec, exec, s[2:3]
	v_mad_u64_u32 v[10:11], s[2:3], v22, s24, 0
	s_load_dwordx2 s[2:3], s[18:19], 0x0
	s_add_u32 s22, s22, 1
	v_mul_lo_u32 v1, v23, s24
	v_mul_lo_u32 v3, v22, s25
	s_load_dwordx2 s[24:25], s[16:17], 0x0
	s_addc_u32 s23, s23, 0
	v_add3_u32 v1, v11, v3, v1
	v_sub_co_u32_e32 v3, vcc, v8, v10
	s_add_u32 s16, s16, 8
	s_nop 0
	v_subb_co_u32_e32 v1, vcc, v9, v1, vcc
	s_addc_u32 s17, s17, 0
	s_waitcnt lgkmcnt(0)
	v_mul_lo_u32 v5, s2, v1
	v_mul_lo_u32 v8, s3, v3
	v_mad_u64_u32 v[6:7], s[2:3], s2, v3, v[6:7]
	s_add_u32 s18, s18, 8
	v_add3_u32 v7, v8, v7, v5
	s_addc_u32 s19, s19, 0
	v_mov_b64_e32 v[8:9], s[10:11]
	v_mul_lo_u32 v1, s24, v1
	v_mul_lo_u32 v5, s25, v3
	v_mad_u64_u32 v[20:21], s[2:3], s24, v3, v[20:21]
	s_add_u32 s20, s20, 8
	v_cmp_ge_u64_e32 vcc, s[22:23], v[8:9]
	v_add3_u32 v21, v5, v21, v1
	s_addc_u32 s21, s21, 0
	s_cbranch_vccnz .LBB0_8
; %bb.7:                                ;   in Loop: Header=BB0_2 Depth=1
	v_mov_b64_e32 v[8:9], v[22:23]
	s_branch .LBB0_2
.LBB0_8:
	s_load_dwordx2 s[0:1], s[0:1], 0x28
	s_lshl_b64 s[10:11], s[10:11], 3
	s_add_u32 s2, s14, s10
	s_addc_u32 s3, s15, s11
                                        ; implicit-def: $sgpr14_sgpr15
                                        ; implicit-def: $vgpr26
	s_waitcnt lgkmcnt(0)
	v_cmp_gt_u64_e32 vcc, s[0:1], v[22:23]
	v_cmp_le_u64_e64 s[0:1], s[0:1], v[22:23]
	s_and_saveexec_b64 s[16:17], s[0:1]
	s_xor_b64 s[0:1], exec, s[16:17]
; %bb.9:
	s_mov_b32 s14, 0xba2e8bb
	v_mul_hi_u32 v1, v0, s14
	v_mul_u32_u24_e32 v1, 22, v1
	v_sub_u32_e32 v26, v0, v1
	s_mov_b64 s[14:15], 0
                                        ; implicit-def: $vgpr0
                                        ; implicit-def: $vgpr6_vgpr7
; %bb.10:
	s_or_saveexec_b64 s[0:1], s[0:1]
	v_mov_b64_e32 v[24:25], s[14:15]
	v_mov_b64_e32 v[4:5], s[14:15]
                                        ; implicit-def: $vgpr46
                                        ; implicit-def: $vgpr40
                                        ; implicit-def: $vgpr48
                                        ; implicit-def: $vgpr38
                                        ; implicit-def: $vgpr50
                                        ; implicit-def: $vgpr42
                                        ; implicit-def: $vgpr52
                                        ; implicit-def: $vgpr44
                                        ; implicit-def: $vgpr32
                                        ; implicit-def: $vgpr54
	s_xor_b64 exec, exec, s[0:1]
	s_cbranch_execz .LBB0_12
; %bb.11:
	s_add_u32 s10, s12, s10
	s_addc_u32 s11, s13, s11
	s_load_dwordx2 s[10:11], s[10:11], 0x0
	s_mov_b32 s12, 0xba2e8bb
	v_mov_b32_e32 v27, 0
	s_waitcnt lgkmcnt(0)
	v_mul_lo_u32 v1, s11, v22
	v_mul_lo_u32 v3, s10, v23
	v_mad_u64_u32 v[4:5], s[10:11], s10, v22, 0
	v_add3_u32 v5, v5, v3, v1
	v_mul_hi_u32 v1, v0, s12
	v_mul_u32_u24_e32 v1, 22, v1
	v_sub_u32_e32 v26, v0, v1
	v_lshl_add_u64 v[0:1], v[4:5], 3, s[4:5]
	v_lshl_add_u64 v[0:1], v[6:7], 3, v[0:1]
	v_lshlrev_b32_e32 v4, 3, v26
	v_mov_b32_e32 v5, v27
	v_lshl_add_u64 v[0:1], v[0:1], 0, v[4:5]
	global_load_dwordx2 v[4:5], v[0:1], off
	global_load_dwordx2 v[54:55], v[0:1], off offset:176
	global_load_dwordx2 v[52:53], v[0:1], off offset:352
	;; [unrolled: 1-line block ×10, first 2 shown]
	v_mov_b64_e32 v[24:25], v[26:27]
.LBB0_12:
	s_or_b64 exec, exec, s[0:1]
	s_waitcnt vmcnt(0)
	v_pk_add_f32 v[34:35], v[54:55], v[32:33]
	v_pk_add_f32 v[56:57], v[54:55], v[32:33] neg_lo:[0,1] neg_hi:[0,1]
	v_pk_add_f32 v[54:55], v[54:55], v[4:5]
	v_pk_add_f32 v[28:29], v[52:53], v[44:45]
	v_pk_add_f32 v[36:37], v[52:53], v[44:45] neg_lo:[0,1] neg_hi:[0,1]
	v_pk_add_f32 v[52:53], v[52:53], v[54:55]
	s_mov_b32 s0, 0xcccccccd
	v_pk_add_f32 v[16:17], v[50:51], v[42:43]
	v_pk_add_f32 v[30:31], v[50:51], v[42:43] neg_lo:[0,1] neg_hi:[0,1]
	v_pk_add_f32 v[50:51], v[50:51], v[52:53]
	v_mul_hi_u32 v0, v2, s0
	v_pk_add_f32 v[14:15], v[48:49], v[38:39]
	v_pk_add_f32 v[18:19], v[48:49], v[38:39] neg_lo:[0,1] neg_hi:[0,1]
	v_pk_add_f32 v[48:49], v[48:49], v[50:51]
	v_lshrrev_b32_e32 v0, 2, v0
	v_pk_add_f32 v[6:7], v[46:47], v[40:41]
	v_pk_add_f32 v[8:9], v[46:47], v[40:41] neg_lo:[0,1] neg_hi:[0,1]
	v_pk_add_f32 v[46:47], v[46:47], v[48:49]
	v_lshl_add_u32 v0, v0, 2, v0
	s_mov_b32 s14, 0xbf0a6770
	v_pk_add_f32 v[40:41], v[40:41], v[46:47]
	v_sub_u32_e32 v0, v2, v0
	s_mov_b32 s10, 0x3f575c64
	v_pk_mul_f32 v[2:3], v[56:57], s[14:15] op_sel_hi:[1,0]
	s_mov_b32 s24, 0xbf68dda4
	v_pk_add_f32 v[38:39], v[38:39], v[40:41]
	v_mul_u32_u24_e32 v27, 0xf2, v0
	v_pk_fma_f32 v[0:1], v[34:35], s[10:11], v[2:3] op_sel:[0,0,1] op_sel_hi:[1,0,0] neg_lo:[0,0,1] neg_hi:[0,0,1]
	v_pk_fma_f32 v[58:59], v[34:35], s[10:11], v[2:3] op_sel:[0,0,1] op_sel_hi:[1,0,0]
	s_mov_b32 s12, 0x3ed4b147
	v_pk_mul_f32 v[12:13], v[36:37], s[24:25] op_sel_hi:[1,0]
	s_mov_b32 s4, 0xbf7d64f0
	v_pk_add_f32 v[38:39], v[42:43], v[38:39]
	v_mov_b32_e32 v3, v59
	v_pk_fma_f32 v[10:11], v[28:29], s[12:13], v[12:13] op_sel:[0,0,1] op_sel_hi:[1,0,0] neg_lo:[0,0,1] neg_hi:[0,0,1]
	v_pk_fma_f32 v[60:61], v[28:29], s[12:13], v[12:13] op_sel:[0,0,1] op_sel_hi:[1,0,0]
	s_mov_b32 s0, 0xbe11bafb
	v_pk_mul_f32 v[62:63], v[30:31], s[4:5] op_sel_hi:[1,0]
	s_mov_b32 s18, 0xbf4178ce
	v_pk_add_f32 v[38:39], v[44:45], v[38:39]
	v_mov_b32_e32 v59, v1
	v_mov_b32_e32 v13, v61
	v_pk_fma_f32 v[54:55], v[16:17], s[0:1], v[62:63] op_sel:[0,0,1] op_sel_hi:[1,0,0] neg_lo:[0,0,1] neg_hi:[0,0,1]
	v_pk_fma_f32 v[62:63], v[16:17], s[0:1], v[62:63] op_sel:[0,0,1] op_sel_hi:[1,0,0]
	s_mov_b32 s16, 0xbf27a4f4
	v_pk_mul_f32 v[50:51], v[18:19], s[18:19] op_sel_hi:[1,0]
	s_mov_b32 s22, 0xbe903f40
	v_pk_add_f32 v[32:33], v[32:33], v[38:39]
	v_pk_add_f32 v[38:39], v[58:59], v[4:5]
	v_mov_b32_e32 v61, v11
	v_mov_b32_e32 v53, v63
	v_pk_fma_f32 v[48:49], v[14:15], s[16:17], v[50:51] op_sel:[0,0,1] op_sel_hi:[1,0,0] neg_lo:[0,0,1] neg_hi:[0,0,1]
	v_pk_fma_f32 v[50:51], v[14:15], s[16:17], v[50:51] op_sel:[0,0,1] op_sel_hi:[1,0,0]
	s_mov_b32 s20, 0xbf75a155
	v_pk_mul_f32 v[40:41], v[8:9], s[22:23] op_sel_hi:[1,0]
	v_pk_add_f32 v[38:39], v[60:61], v[38:39]
	v_mov_b32_e32 v63, v55
	v_mov_b32_e32 v47, v51
	v_pk_fma_f32 v[42:43], v[6:7], s[20:21], v[40:41] op_sel:[0,0,1] op_sel_hi:[1,0,0] neg_lo:[0,0,1] neg_hi:[0,0,1]
	v_pk_fma_f32 v[40:41], v[6:7], s[20:21], v[40:41] op_sel:[0,0,1] op_sel_hi:[1,0,0]
	v_pk_add_f32 v[38:39], v[62:63], v[38:39]
	v_mov_b32_e32 v51, v49
	v_mov_b32_e32 v45, v41
	v_lshl_add_u32 v116, v27, 3, 0
	s_movk_i32 s1, 0x58
	v_pk_add_f32 v[38:39], v[50:51], v[38:39]
	v_mov_b32_e32 v41, v43
	v_mad_u32_u24 v117, v26, s1, v116
	v_pk_add_f32 v[38:39], v[40:41], v[38:39]
	ds_write2_b64 v117, v[32:33], v[38:39] offset1:1
	v_pk_mul_f32 v[32:33], v[56:57], s[24:25] op_sel_hi:[1,0]
	v_pk_mul_f32 v[50:51], v[36:37], s[18:19] op_sel_hi:[1,0]
	v_pk_fma_f32 v[38:39], v[34:35], s[12:13], v[32:33] op_sel:[0,0,1] op_sel_hi:[1,0,0]
	v_pk_fma_f32 v[32:33], v[34:35], s[12:13], v[32:33] op_sel:[0,0,1] op_sel_hi:[1,0,0] neg_lo:[0,0,1] neg_hi:[0,0,1]
	v_mov_b32_e32 v40, v38
	v_mov_b32_e32 v41, v33
	v_pk_fma_f32 v[58:59], v[28:29], s[16:17], v[50:51] op_sel:[0,0,1] op_sel_hi:[1,0,0]
	v_pk_fma_f32 v[50:51], v[28:29], s[16:17], v[50:51] op_sel:[0,0,1] op_sel_hi:[1,0,0] neg_lo:[0,0,1] neg_hi:[0,0,1]
	v_mov_b32_e32 v60, v58
	v_mov_b32_e32 v61, v51
	s_mov_b32 s26, 0x3e903f40
	v_pk_add_f32 v[40:41], v[40:41], v[4:5]
	s_mov_b32 s28, 0x3f7d64f0
	v_pk_add_f32 v[40:41], v[60:61], v[40:41]
	v_pk_mul_f32 v[60:61], v[30:31], s[26:27] op_sel_hi:[1,0]
	s_mov_b32 s24, 0x3f0a6770
	v_pk_fma_f32 v[62:63], v[16:17], s[20:21], v[60:61] op_sel:[0,0,1] op_sel_hi:[1,0,0]
	v_pk_fma_f32 v[60:61], v[16:17], s[20:21], v[60:61] op_sel:[0,0,1] op_sel_hi:[1,0,0] neg_lo:[0,0,1] neg_hi:[0,0,1]
	v_mov_b32_e32 v64, v62
	v_mov_b32_e32 v65, v61
	v_pk_add_f32 v[40:41], v[64:65], v[40:41]
	v_pk_mul_f32 v[64:65], v[18:19], s[28:29] op_sel_hi:[1,0]
	v_pk_mul_f32 v[78:79], v[36:37], s[26:27] op_sel_hi:[1,0]
	v_pk_fma_f32 v[66:67], v[14:15], s[0:1], v[64:65] op_sel:[0,0,1] op_sel_hi:[1,0,0]
	v_pk_fma_f32 v[64:65], v[14:15], s[0:1], v[64:65] op_sel:[0,0,1] op_sel_hi:[1,0,0] neg_lo:[0,0,1] neg_hi:[0,0,1]
	v_mov_b32_e32 v68, v66
	v_mov_b32_e32 v69, v65
	v_pk_add_f32 v[40:41], v[68:69], v[40:41]
	v_pk_mul_f32 v[68:69], v[8:9], s[24:25] op_sel_hi:[1,0]
	v_pk_fma_f32 v[80:81], v[28:29], s[20:21], v[78:79] op_sel:[0,0,1] op_sel_hi:[1,0,0]
	v_pk_fma_f32 v[70:71], v[6:7], s[10:11], v[68:69] op_sel:[0,0,1] op_sel_hi:[1,0,0]
	v_pk_fma_f32 v[68:69], v[6:7], s[10:11], v[68:69] op_sel:[0,0,1] op_sel_hi:[1,0,0] neg_lo:[0,0,1] neg_hi:[0,0,1]
	v_mov_b32_e32 v72, v70
	v_mov_b32_e32 v73, v69
	v_pk_add_f32 v[40:41], v[72:73], v[40:41]
	v_pk_mul_f32 v[72:73], v[56:57], s[4:5] op_sel_hi:[1,0]
	v_pk_fma_f32 v[78:79], v[28:29], s[20:21], v[78:79] op_sel:[0,0,1] op_sel_hi:[1,0,0] neg_lo:[0,0,1] neg_hi:[0,0,1]
	v_pk_fma_f32 v[74:75], v[34:35], s[0:1], v[72:73] op_sel:[0,0,1] op_sel_hi:[1,0,0]
	v_pk_fma_f32 v[72:73], v[34:35], s[0:1], v[72:73] op_sel:[0,0,1] op_sel_hi:[1,0,0] neg_lo:[0,0,1] neg_hi:[0,0,1]
	v_mov_b32_e32 v76, v74
	v_mov_b32_e32 v77, v73
	v_mov_b32_e32 v82, v80
	v_mov_b32_e32 v83, v79
	v_pk_add_f32 v[76:77], v[76:77], v[4:5]
	s_mov_b32 s26, 0x3f68dda4
	v_pk_add_f32 v[76:77], v[82:83], v[76:77]
	v_pk_mul_f32 v[82:83], v[30:31], s[26:27] op_sel_hi:[1,0]
	v_pk_mul_f32 v[96:97], v[36:37], s[28:29] op_sel_hi:[1,0]
	v_pk_fma_f32 v[84:85], v[16:17], s[12:13], v[82:83] op_sel:[0,0,1] op_sel_hi:[1,0,0]
	v_pk_fma_f32 v[82:83], v[16:17], s[12:13], v[82:83] op_sel:[0,0,1] op_sel_hi:[1,0,0] neg_lo:[0,0,1] neg_hi:[0,0,1]
	v_mov_b32_e32 v86, v84
	v_mov_b32_e32 v87, v83
	v_pk_add_f32 v[76:77], v[86:87], v[76:77]
	v_pk_mul_f32 v[86:87], v[18:19], s[14:15] op_sel_hi:[1,0]
	v_pk_fma_f32 v[98:99], v[28:29], s[0:1], v[96:97] op_sel:[0,0,1] op_sel_hi:[1,0,0]
	v_pk_fma_f32 v[88:89], v[14:15], s[10:11], v[86:87] op_sel:[0,0,1] op_sel_hi:[1,0,0]
	v_pk_fma_f32 v[86:87], v[14:15], s[10:11], v[86:87] op_sel:[0,0,1] op_sel_hi:[1,0,0] neg_lo:[0,0,1] neg_hi:[0,0,1]
	v_mov_b32_e32 v90, v88
	v_mov_b32_e32 v91, v87
	v_pk_add_f32 v[76:77], v[90:91], v[76:77]
	v_pk_mul_f32 v[90:91], v[8:9], s[18:19] op_sel_hi:[1,0]
	v_pk_fma_f32 v[96:97], v[28:29], s[0:1], v[96:97] op_sel:[0,0,1] op_sel_hi:[1,0,0] neg_lo:[0,0,1] neg_hi:[0,0,1]
	v_pk_fma_f32 v[92:93], v[6:7], s[16:17], v[90:91] op_sel:[0,0,1] op_sel_hi:[1,0,0]
	v_pk_fma_f32 v[90:91], v[6:7], s[16:17], v[90:91] op_sel:[0,0,1] op_sel_hi:[1,0,0] neg_lo:[0,0,1] neg_hi:[0,0,1]
	v_mov_b32_e32 v94, v92
	v_mov_b32_e32 v95, v91
	v_pk_add_f32 v[76:77], v[94:95], v[76:77]
	ds_write2_b64 v117, v[40:41], v[76:77] offset0:2 offset1:3
	v_pk_mul_f32 v[40:41], v[56:57], s[18:19] op_sel_hi:[1,0]
	v_mov_b32_e32 v100, v98
	v_pk_fma_f32 v[76:77], v[34:35], s[16:17], v[40:41] op_sel:[0,0,1] op_sel_hi:[1,0,0]
	v_pk_fma_f32 v[40:41], v[34:35], s[16:17], v[40:41] op_sel:[0,0,1] op_sel_hi:[1,0,0] neg_lo:[0,0,1] neg_hi:[0,0,1]
	v_mov_b32_e32 v94, v76
	v_mov_b32_e32 v95, v41
	;; [unrolled: 1-line block ×3, first 2 shown]
	v_pk_add_f32 v[94:95], v[94:95], v[4:5]
	v_pk_mul_f32 v[56:57], v[56:57], s[22:23] op_sel_hi:[1,0]
	v_pk_add_f32 v[94:95], v[100:101], v[94:95]
	v_pk_mul_f32 v[100:101], v[30:31], s[14:15] op_sel_hi:[1,0]
	v_pk_mul_f32 v[36:37], v[36:37], s[24:25] op_sel_hi:[1,0]
	v_pk_fma_f32 v[102:103], v[16:17], s[10:11], v[100:101] op_sel:[0,0,1] op_sel_hi:[1,0,0]
	v_pk_fma_f32 v[100:101], v[16:17], s[10:11], v[100:101] op_sel:[0,0,1] op_sel_hi:[1,0,0] neg_lo:[0,0,1] neg_hi:[0,0,1]
	v_mov_b32_e32 v104, v102
	v_mov_b32_e32 v105, v101
	v_pk_add_f32 v[94:95], v[104:105], v[94:95]
	v_pk_mul_f32 v[104:105], v[18:19], s[22:23] op_sel_hi:[1,0]
	v_pk_mul_f32 v[30:31], v[30:31], s[18:19] op_sel_hi:[1,0]
	v_pk_fma_f32 v[106:107], v[14:15], s[20:21], v[104:105] op_sel:[0,0,1] op_sel_hi:[1,0,0]
	v_pk_fma_f32 v[104:105], v[14:15], s[20:21], v[104:105] op_sel:[0,0,1] op_sel_hi:[1,0,0] neg_lo:[0,0,1] neg_hi:[0,0,1]
	v_mov_b32_e32 v108, v106
	v_mov_b32_e32 v109, v105
	;; [unrolled: 7-line block ×3, first 2 shown]
	v_pk_add_f32 v[94:95], v[112:113], v[94:95]
	v_pk_fma_f32 v[112:113], v[34:35], s[20:21], v[56:57] op_sel:[0,0,1] op_sel_hi:[1,0,0]
	v_pk_fma_f32 v[34:35], v[34:35], s[20:21], v[56:57] op_sel:[0,0,1] op_sel_hi:[1,0,0] neg_lo:[0,0,1] neg_hi:[0,0,1]
	v_pk_fma_f32 v[56:57], v[28:29], s[10:11], v[36:37] op_sel:[0,0,1] op_sel_hi:[1,0,0]
	v_pk_fma_f32 v[28:29], v[28:29], s[10:11], v[36:37] op_sel:[0,0,1] op_sel_hi:[1,0,0] neg_lo:[0,0,1] neg_hi:[0,0,1]
	;; [unrolled: 2-line block ×4, first 2 shown]
	v_mov_b32_e32 v18, v112
	v_mov_b32_e32 v19, v35
	;; [unrolled: 1-line block ×4, first 2 shown]
	v_pk_add_f32 v[18:19], v[18:19], v[4:5]
	v_mov_b32_e32 v2, v0
	v_mov_b32_e32 v35, v113
	v_pk_add_f32 v[18:19], v[114:115], v[18:19]
	v_mov_b32_e32 v114, v36
	v_mov_b32_e32 v115, v17
	v_pk_add_f32 v[0:1], v[2:3], v[4:5]
	v_mov_b32_e32 v29, v57
	v_pk_add_f32 v[2:3], v[34:35], v[4:5]
	v_pk_add_f32 v[18:19], v[114:115], v[18:19]
	v_mov_b32_e32 v114, v30
	v_mov_b32_e32 v115, v15
	v_pk_mul_f32 v[8:9], v[8:9], s[4:5] op_sel_hi:[1,0]
	v_mov_b32_e32 v17, v37
	v_pk_add_f32 v[2:3], v[28:29], v[2:3]
	v_pk_add_f32 v[18:19], v[114:115], v[18:19]
	v_pk_fma_f32 v[114:115], v[6:7], s[0:1], v[8:9] op_sel:[0,0,1] op_sel_hi:[1,0,0]
	v_pk_fma_f32 v[6:7], v[6:7], s[0:1], v[8:9] op_sel:[0,0,1] op_sel_hi:[1,0,0] neg_lo:[0,0,1] neg_hi:[0,0,1]
	v_mov_b32_e32 v15, v31
	v_pk_add_f32 v[2:3], v[16:17], v[2:3]
	v_mov_b32_e32 v9, v7
	v_pk_add_f32 v[2:3], v[14:15], v[2:3]
	v_mov_b32_e32 v7, v115
	v_mov_b32_e32 v41, v77
	v_pk_add_f32 v[2:3], v[6:7], v[2:3]
	v_mov_b32_e32 v97, v99
	v_pk_add_f32 v[6:7], v[40:41], v[4:5]
	;; [unrolled: 2-line block ×6, first 2 shown]
	v_mov_b32_e32 v33, v39
	ds_write2_b64 v117, v[2:3], v[6:7] offset0:6 offset1:7
	v_mov_b32_e32 v79, v81
	v_pk_add_f32 v[2:3], v[72:73], v[4:5]
	v_mov_b32_e32 v51, v59
	v_pk_add_f32 v[4:5], v[32:33], v[4:5]
	v_mov_b32_e32 v12, v10
	v_mov_b32_e32 v83, v85
	v_pk_add_f32 v[2:3], v[78:79], v[2:3]
	v_mov_b32_e32 v61, v63
	v_pk_add_f32 v[4:5], v[50:51], v[4:5]
	v_pk_add_f32 v[0:1], v[12:13], v[0:1]
	v_mov_b32_e32 v52, v54
	v_mov_b32_e32 v87, v89
	v_pk_add_f32 v[2:3], v[82:83], v[2:3]
	v_mov_b32_e32 v65, v67
	v_pk_add_f32 v[4:5], v[60:61], v[4:5]
	;; [unrolled: 2-line block ×5, first 2 shown]
	v_mov_b32_e32 v69, v71
	s_movk_i32 s0, 0xffb0
	v_pk_add_f32 v[8:9], v[8:9], v[18:19]
	v_pk_add_f32 v[0:1], v[46:47], v[0:1]
	v_mov_b32_e32 v44, v42
	v_pk_add_f32 v[2:3], v[90:91], v[2:3]
	v_pk_add_f32 v[4:5], v[68:69], v[4:5]
	v_mad_i32_i24 v32, v26, s0, v117
	ds_write2_b64 v117, v[94:95], v[8:9] offset0:4 offset1:5
	s_load_dwordx2 s[4:5], s[2:3], 0x0
	v_pk_add_f32 v[0:1], v[44:45], v[0:1]
	ds_write2_b64 v117, v[2:3], v[4:5] offset0:8 offset1:9
	ds_write_b64 v117, v[0:1] offset:80
	s_waitcnt lgkmcnt(0)
	s_barrier
	v_lshl_add_u32 v33, v26, 3, v116
	ds_read2_b64 v[12:15], v32 offset0:121 offset1:143
	ds_read2_b64 v[4:7], v32 offset0:22 offset1:44
	ds_read2_b64 v[16:19], v32 offset0:165 offset1:187
	ds_read2_b64 v[8:11], v32 offset0:66 offset1:88
	ds_read_b64 v[28:29], v33
	ds_read_b64 v[30:31], v32 offset:1672
	v_cmp_gt_u32_e64 s[0:1], 11, v26
	s_and_saveexec_b64 s[2:3], s[0:1]
	s_cbranch_execz .LBB0_14
; %bb.13:
	ds_read2_b64 v[0:3], v32 offset0:110 offset1:231
.LBB0_14:
	s_or_b64 exec, exec, s[2:3]
	v_add_u32_e32 v34, -11, v26
	v_cndmask_b32_e64 v36, v34, v26, s[0:1]
	v_add_u16_e32 v34, 22, v26
	s_movk_i32 s10, 0x75
	v_mov_b32_e32 v37, 0
	v_mul_lo_u16_sdwa v35, v34, s10 dst_sel:DWORD dst_unused:UNUSED_PAD src0_sel:BYTE_0 src1_sel:DWORD
	v_lshl_add_u64 v[38:39], v[36:37], 3, s[8:9]
	v_sub_u16_sdwa v37, v34, v35 dst_sel:DWORD dst_unused:UNUSED_PAD src0_sel:DWORD src1_sel:BYTE_1
	v_lshrrev_b16_e32 v37, 1, v37
	v_and_b32_e32 v37, 0x7f, v37
	v_add_u16_sdwa v35, v37, v35 dst_sel:DWORD dst_unused:UNUSED_PAD src0_sel:DWORD src1_sel:BYTE_1
	v_lshrrev_b16_e32 v35, 3, v35
	v_mul_lo_u16_e32 v37, 11, v35
	v_sub_u16_e32 v37, v34, v37
	v_add_u16_e32 v34, 44, v26
	v_mul_lo_u16_sdwa v40, v34, s10 dst_sel:DWORD dst_unused:UNUSED_PAD src0_sel:BYTE_0 src1_sel:DWORD
	v_sub_u16_sdwa v41, v34, v40 dst_sel:DWORD dst_unused:UNUSED_PAD src0_sel:DWORD src1_sel:BYTE_1
	v_lshrrev_b16_e32 v41, 1, v41
	v_and_b32_e32 v41, 0x7f, v41
	v_add_u16_sdwa v40, v41, v40 dst_sel:DWORD dst_unused:UNUSED_PAD src0_sel:DWORD src1_sel:BYTE_1
	v_lshrrev_b16_e32 v50, 3, v40
	v_mul_lo_u16_e32 v40, 11, v50
	v_sub_u16_e32 v40, v34, v40
	v_add_u16_e32 v34, 0x42, v26
	v_mul_lo_u16_sdwa v41, v34, s10 dst_sel:DWORD dst_unused:UNUSED_PAD src0_sel:BYTE_0 src1_sel:DWORD
	;; [unrolled: 9-line block ×3, first 2 shown]
	v_sub_u16_sdwa v43, v34, v42 dst_sel:DWORD dst_unused:UNUSED_PAD src0_sel:DWORD src1_sel:BYTE_1
	v_lshrrev_b16_e32 v43, 1, v43
	v_and_b32_e32 v43, 0x7f, v43
	v_add_u16_sdwa v42, v43, v42 dst_sel:DWORD dst_unused:UNUSED_PAD src0_sel:DWORD src1_sel:BYTE_1
	v_lshrrev_b16_e32 v52, 3, v42
	v_mul_lo_u16_e32 v42, 11, v52
	v_sub_u16_e32 v42, v34, v42
	v_mov_b32_e32 v34, 3
	v_lshlrev_b32_sdwa v55, v34, v42 dst_sel:DWORD dst_unused:UNUSED_PAD src0_sel:DWORD src1_sel:BYTE_0
	v_lshlrev_b32_sdwa v37, v34, v37 dst_sel:DWORD dst_unused:UNUSED_PAD src0_sel:DWORD src1_sel:BYTE_0
	;; [unrolled: 1-line block ×4, first 2 shown]
	global_load_dwordx2 v[40:41], v55, s[8:9]
	global_load_dwordx2 v[42:43], v54, s[8:9]
	;; [unrolled: 1-line block ×4, first 2 shown]
	global_load_dwordx2 v[48:49], v[38:39], off
	v_mov_b32_e32 v38, 0xb0
	v_cmp_lt_u32_e64 s[2:3], 10, v26
	s_movk_i32 s11, 0xb0
	v_lshlrev_b32_e32 v27, 3, v27
	v_cndmask_b32_e64 v38, 0, v38, s[2:3]
	v_add_u32_e32 v38, 0, v38
	v_lshlrev_b32_e32 v36, 3, v36
	v_add3_u32 v58, v38, v36, v27
	v_mad_u32_u24 v35, v35, s11, 0
	v_mad_u32_u24 v36, v50, s11, 0
	;; [unrolled: 1-line block ×4, first 2 shown]
	v_add3_u32 v35, v35, v37, v27
	v_add3_u32 v59, v36, v53, v27
	;; [unrolled: 1-line block ×4, first 2 shown]
	s_waitcnt lgkmcnt(0)
	s_barrier
	s_waitcnt vmcnt(4)
	v_pk_mul_f32 v[36:37], v[40:41], v[30:31] op_sel:[0,1]
	s_waitcnt vmcnt(3)
	v_pk_mul_f32 v[38:39], v[42:43], v[18:19] op_sel:[0,1]
	;; [unrolled: 2-line block ×5, first 2 shown]
	v_pk_fma_f32 v[56:57], v[40:41], v[30:31], v[36:37] op_sel:[0,0,1] op_sel_hi:[1,1,0]
	v_pk_fma_f32 v[30:31], v[40:41], v[30:31], v[36:37] op_sel:[0,0,1] op_sel_hi:[1,0,0] neg_lo:[1,0,0] neg_hi:[1,0,0]
	v_pk_fma_f32 v[36:37], v[42:43], v[18:19], v[38:39] op_sel:[0,0,1] op_sel_hi:[1,1,0]
	v_pk_fma_f32 v[18:19], v[42:43], v[18:19], v[38:39] op_sel:[0,0,1] op_sel_hi:[1,0,0] neg_lo:[1,0,0] neg_hi:[1,0,0]
	;; [unrolled: 2-line block ×5, first 2 shown]
	v_mov_b32_e32 v43, v13
	v_mov_b32_e32 v57, v31
	;; [unrolled: 1-line block ×5, first 2 shown]
	v_pk_add_f32 v[30:31], v[28:29], v[42:43] neg_lo:[0,1] neg_hi:[0,1]
	v_pk_add_f32 v[12:13], v[10:11], v[56:57] neg_lo:[0,1] neg_hi:[0,1]
	;; [unrolled: 1-line block ×5, first 2 shown]
	v_pk_fma_f32 v[28:29], v[28:29], 2.0, v[30:31] op_sel_hi:[1,0,1] neg_lo:[0,0,1] neg_hi:[0,0,1]
	v_pk_fma_f32 v[10:11], v[10:11], 2.0, v[12:13] op_sel_hi:[1,0,1] neg_lo:[0,0,1] neg_hi:[0,0,1]
	;; [unrolled: 1-line block ×5, first 2 shown]
	ds_write2_b64 v58, v[28:29], v[30:31] offset1:11
	ds_write2_b64 v35, v[4:5], v[18:19] offset1:11
	ds_write2_b64 v59, v[6:7], v[16:17] offset1:11
	ds_write2_b64 v60, v[8:9], v[14:15] offset1:11
	ds_write2_b64 v61, v[10:11], v[12:13] offset1:11
	s_and_saveexec_b64 s[2:3], s[0:1]
	s_cbranch_execz .LBB0_16
; %bb.15:
	v_add_u16_e32 v4, 0x6e, v26
	v_mul_lo_u16_sdwa v5, v4, s10 dst_sel:DWORD dst_unused:UNUSED_PAD src0_sel:BYTE_0 src1_sel:DWORD
	v_sub_u16_sdwa v6, v4, v5 dst_sel:DWORD dst_unused:UNUSED_PAD src0_sel:DWORD src1_sel:BYTE_1
	v_lshrrev_b16_e32 v6, 1, v6
	v_and_b32_e32 v6, 0x7f, v6
	v_add_u16_sdwa v5, v6, v5 dst_sel:DWORD dst_unused:UNUSED_PAD src0_sel:DWORD src1_sel:BYTE_1
	v_lshrrev_b16_e32 v5, 3, v5
	v_mul_lo_u16_e32 v5, 11, v5
	v_sub_u16_e32 v4, v4, v5
	v_lshlrev_b32_sdwa v7, v34, v4 dst_sel:DWORD dst_unused:UNUSED_PAD src0_sel:DWORD src1_sel:BYTE_0
	global_load_dwordx2 v[4:5], v7, s[8:9]
	v_mov_b32_e32 v6, v3
	v_add3_u32 v10, 0, v7, v27
	s_waitcnt vmcnt(0)
	v_pk_mul_f32 v[6:7], v[6:7], v[4:5] op_sel_hi:[0,1]
	v_pk_fma_f32 v[8:9], v[2:3], v[4:5], v[6:7] op_sel:[0,0,1] op_sel_hi:[1,1,0]
	v_pk_fma_f32 v[2:3], v[2:3], v[4:5], v[6:7] op_sel:[0,0,1] op_sel_hi:[0,1,0] neg_lo:[1,0,0] neg_hi:[1,0,0]
	v_mov_b32_e32 v9, v3
	v_pk_add_f32 v[2:3], v[0:1], v[8:9] neg_lo:[0,1] neg_hi:[0,1]
	s_nop 0
	v_pk_fma_f32 v[0:1], v[0:1], 2.0, v[2:3] op_sel_hi:[1,0,1] neg_lo:[0,0,1] neg_hi:[0,0,1]
	ds_write2_b64 v10, v[0:1], v[2:3] offset0:220 offset1:231
.LBB0_16:
	s_or_b64 exec, exec, s[2:3]
	s_waitcnt lgkmcnt(0)
	s_barrier
	s_and_saveexec_b64 s[0:1], vcc
	s_cbranch_execz .LBB0_18
; %bb.17:
	v_mul_u32_u24_e32 v0, 10, v26
	v_lshlrev_b32_e32 v0, 3, v0
	global_load_dwordx4 v[4:7], v0, s[8:9] offset:152
	global_load_dwordx4 v[8:11], v0, s[8:9] offset:88
	;; [unrolled: 1-line block ×5, first 2 shown]
	v_mul_lo_u32 v50, s5, v22
	v_mul_lo_u32 v23, s4, v23
	v_mad_u64_u32 v[2:3], s[0:1], s4, v22, 0
	ds_read2_b64 v[34:37], v32 offset0:22 offset1:44
	ds_read_b64 v[0:1], v33
	ds_read2_b64 v[38:41], v32 offset0:66 offset1:88
	ds_read2_b64 v[42:45], v32 offset0:110 offset1:132
	;; [unrolled: 1-line block ×4, first 2 shown]
	v_add3_u32 v3, v3, v23, v50
	v_lshl_add_u64 v[2:3], v[2:3], 3, s[6:7]
	v_lshl_add_u64 v[2:3], v[20:21], 3, v[2:3]
	;; [unrolled: 1-line block ×3, first 2 shown]
	s_waitcnt lgkmcnt(5)
	v_mov_b32_e32 v20, v37
	s_mov_b32 s8, 0x3f575c64
	s_mov_b32 s18, 0xbf68dda4
	;; [unrolled: 1-line block ×11, first 2 shown]
	s_waitcnt vmcnt(4)
	v_mov_b32_e32 v22, v7
	s_waitcnt lgkmcnt(1)
	v_pk_mul_f32 v[24:25], v[46:47], v[4:5] op_sel:[0,1]
	s_waitcnt vmcnt(3)
	v_pk_mul_f32 v[64:65], v[8:9], v[34:35] op_sel:[0,1]
	v_pk_mul_f32 v[22:23], v[48:49], v[22:23] op_sel_hi:[1,0]
	s_waitcnt vmcnt(0)
	v_pk_mul_f32 v[62:63], v[26:27], v[42:43] op_sel:[0,1]
	v_mov_b32_e32 v50, v11
	v_mov_b32_e32 v51, v10
	v_pk_mul_f32 v[10:11], v[10:11], v[36:37] op_sel_hi:[1,0]
	v_pk_mul_f32 v[54:55], v[16:17], v[38:39] op_sel:[0,1]
	s_waitcnt lgkmcnt(0)
	v_pk_mul_f32 v[56:57], v[30:31], v[12:13] op_sel:[0,1]
	v_pk_mul_f32 v[58:59], v[18:19], v[40:41] op_sel:[0,1]
	v_pk_fma_f32 v[66:67], v[4:5], v[46:47], v[24:25] op_sel:[0,0,1] op_sel_hi:[1,1,0]
	v_pk_fma_f32 v[4:5], v[4:5], v[46:47], v[24:25] op_sel:[0,0,1] op_sel_hi:[0,1,0] neg_lo:[0,0,1] neg_hi:[0,0,1]
	v_pk_fma_f32 v[46:47], v[26:27], v[42:43], v[62:63] op_sel:[0,0,1] op_sel_hi:[1,1,0]
	v_pk_fma_f32 v[26:27], v[26:27], v[42:43], v[62:63] op_sel:[0,0,1] op_sel_hi:[1,0,0] neg_lo:[1,0,0] neg_hi:[1,0,0]
	;; [unrolled: 2-line block ×4, first 2 shown]
	v_mov_b32_e32 v52, v15
	v_mov_b32_e32 v60, v29
	v_pk_fma_f32 v[20:21], v[50:51], v[20:21], v[10:11]
	v_pk_fma_f32 v[10:11], v[50:51], v[36:37], v[10:11] op_sel:[0,1,0] neg_lo:[0,0,1] neg_hi:[0,0,1]
	v_pk_fma_f32 v[36:37], v[16:17], v[38:39], v[54:55] op_sel:[0,0,1] op_sel_hi:[1,1,0]
	v_pk_fma_f32 v[16:17], v[16:17], v[38:39], v[54:55] op_sel:[0,0,1] op_sel_hi:[1,0,0] neg_lo:[1,0,0] neg_hi:[1,0,0]
	v_pk_fma_f32 v[38:39], v[12:13], v[30:31], v[56:57] op_sel:[0,0,1] op_sel_hi:[1,1,0]
	v_pk_fma_f32 v[12:13], v[12:13], v[30:31], v[56:57] op_sel:[0,0,1] op_sel_hi:[0,1,0] neg_lo:[0,0,1] neg_hi:[0,0,1]
	;; [unrolled: 2-line block ×3, first 2 shown]
	v_mov_b32_e32 v43, v9
	v_mov_b32_e32 v35, v7
	v_pk_mul_f32 v[24:25], v[32:33], v[52:53] op_sel_hi:[1,0]
	v_pk_mul_f32 v[40:41], v[44:45], v[60:61] op_sel_hi:[1,0]
	v_mov_b32_e32 v67, v5
	v_mov_b32_e32 v21, v11
	;; [unrolled: 1-line block ×3, first 2 shown]
	v_pk_add_f32 v[18:19], v[42:43], v[34:35] neg_lo:[0,1] neg_hi:[0,1]
	v_pk_fma_f32 v[4:5], v[14:15], v[32:33], v[24:25] op_sel:[0,0,1] op_sel_hi:[1,1,0]
	v_pk_fma_f32 v[10:11], v[14:15], v[32:33], v[24:25] op_sel:[0,0,1] op_sel_hi:[0,1,0] neg_lo:[0,0,1] neg_hi:[0,0,1]
	v_mov_b32_e32 v37, v17
	v_mov_b32_e32 v39, v13
	v_pk_fma_f32 v[12:13], v[28:29], v[44:45], v[40:41] op_sel:[0,0,1] op_sel_hi:[1,1,0]
	v_pk_fma_f32 v[14:15], v[28:29], v[44:45], v[40:41] op_sel:[0,0,1] op_sel_hi:[0,1,0] neg_lo:[0,0,1] neg_hi:[0,0,1]
	v_pk_add_f32 v[8:9], v[20:21], v[66:67] neg_lo:[0,1] neg_hi:[0,1]
	v_pk_add_f32 v[16:17], v[42:43], v[34:35]
	v_pk_mul_f32 v[40:41], v[18:19], s[14:15] op_sel_hi:[1,0]
	v_pk_add_f32 v[42:43], v[42:43], v[0:1]
	v_mov_b32_e32 v5, v11
	v_pk_add_f32 v[6:7], v[20:21], v[66:67]
	v_pk_mul_f32 v[22:23], v[8:9], s[18:19] op_sel_hi:[1,0]
	v_pk_fma_f32 v[52:53], v[16:17], s[8:9], v[40:41] op_sel:[0,0,1] op_sel_hi:[1,0,0]
	v_pk_fma_f32 v[40:41], v[16:17], s[8:9], v[40:41] op_sel:[0,0,1] op_sel_hi:[1,0,0] neg_lo:[0,0,1] neg_hi:[0,0,1]
	v_pk_add_f32 v[20:21], v[42:43], v[20:21]
	v_mov_b32_e32 v47, v27
	v_pk_add_f32 v[26:27], v[36:37], v[4:5] neg_lo:[0,1] neg_hi:[0,1]
	v_mov_b32_e32 v54, v52
	v_mov_b32_e32 v55, v41
	v_pk_fma_f32 v[56:57], v[6:7], s[0:1], v[22:23] op_sel:[0,0,1] op_sel_hi:[1,0,0]
	v_pk_fma_f32 v[22:23], v[6:7], s[0:1], v[22:23] op_sel:[0,0,1] op_sel_hi:[1,0,0] neg_lo:[0,0,1] neg_hi:[0,0,1]
	v_pk_add_f32 v[20:21], v[20:21], v[36:37]
	v_pk_add_f32 v[24:25], v[36:37], v[4:5]
	v_pk_mul_f32 v[44:45], v[26:27], s[4:5] op_sel_hi:[1,0]
	v_pk_add_f32 v[54:55], v[54:55], v[0:1]
	v_mov_b32_e32 v58, v56
	v_mov_b32_e32 v59, v23
	v_pk_add_f32 v[20:21], v[20:21], v[30:31]
	v_mov_b32_e32 v13, v15
	v_pk_add_f32 v[14:15], v[30:31], v[38:39] neg_lo:[0,1] neg_hi:[0,1]
	v_pk_add_f32 v[54:55], v[54:55], v[58:59]
	v_pk_fma_f32 v[58:59], v[24:25], s[2:3], v[44:45] op_sel:[0,0,1] op_sel_hi:[1,0,0]
	v_pk_fma_f32 v[44:45], v[24:25], s[2:3], v[44:45] op_sel:[0,0,1] op_sel_hi:[1,0,0] neg_lo:[0,0,1] neg_hi:[0,0,1]
	v_pk_add_f32 v[20:21], v[20:21], v[46:47]
	v_pk_add_f32 v[10:11], v[30:31], v[38:39]
	v_pk_mul_f32 v[28:29], v[14:15], s[12:13] op_sel_hi:[1,0]
	v_pk_add_f32 v[32:33], v[46:47], v[12:13]
	v_pk_add_f32 v[48:49], v[46:47], v[12:13] neg_lo:[0,1] neg_hi:[0,1]
	v_mov_b32_e32 v60, v58
	v_mov_b32_e32 v61, v45
	v_pk_add_f32 v[12:13], v[20:21], v[12:13]
	v_pk_add_f32 v[54:55], v[54:55], v[60:61]
	v_pk_fma_f32 v[60:61], v[10:11], s[10:11], v[28:29] op_sel:[0,0,1] op_sel_hi:[1,0,0]
	v_pk_fma_f32 v[28:29], v[10:11], s[10:11], v[28:29] op_sel:[0,0,1] op_sel_hi:[1,0,0] neg_lo:[0,0,1] neg_hi:[0,0,1]
	v_pk_add_f32 v[12:13], v[38:39], v[12:13]
	v_pk_mul_f32 v[50:51], v[48:49], s[16:17] op_sel_hi:[1,0]
	v_mov_b32_e32 v62, v60
	v_mov_b32_e32 v63, v29
	v_pk_add_f32 v[4:5], v[4:5], v[12:13]
	v_pk_add_f32 v[54:55], v[54:55], v[62:63]
	v_pk_fma_f32 v[62:63], v[32:33], s[6:7], v[50:51] op_sel:[0,0,1] op_sel_hi:[1,0,0]
	v_pk_fma_f32 v[50:51], v[32:33], s[6:7], v[50:51] op_sel:[0,0,1] op_sel_hi:[1,0,0] neg_lo:[0,0,1] neg_hi:[0,0,1]
	v_pk_add_f32 v[4:5], v[66:67], v[4:5]
	v_mov_b32_e32 v64, v62
	v_mov_b32_e32 v65, v51
	v_pk_add_f32 v[4:5], v[34:35], v[4:5]
	v_pk_add_f32 v[54:55], v[54:55], v[64:65]
	global_store_dwordx2 v[2:3], v[4:5], off
	global_store_dwordx2 v[2:3], v[54:55], off offset:176
	v_pk_mul_f32 v[4:5], v[18:19], s[18:19] op_sel_hi:[1,0]
	v_pk_mul_f32 v[30:31], v[8:9], s[12:13] op_sel_hi:[1,0]
	v_pk_fma_f32 v[12:13], v[16:17], s[0:1], v[4:5] op_sel:[0,0,1] op_sel_hi:[1,0,0]
	v_pk_fma_f32 v[4:5], v[16:17], s[0:1], v[4:5] op_sel:[0,0,1] op_sel_hi:[1,0,0] neg_lo:[0,0,1] neg_hi:[0,0,1]
	v_mov_b32_e32 v20, v12
	v_mov_b32_e32 v21, v5
	v_pk_fma_f32 v[34:35], v[6:7], s[10:11], v[30:31] op_sel:[0,0,1] op_sel_hi:[1,0,0]
	v_pk_fma_f32 v[30:31], v[6:7], s[10:11], v[30:31] op_sel:[0,0,1] op_sel_hi:[1,0,0] neg_lo:[0,0,1] neg_hi:[0,0,1]
	v_pk_add_f32 v[20:21], v[20:21], v[0:1]
	v_mov_b32_e32 v36, v34
	v_mov_b32_e32 v37, v31
	s_mov_b32 s18, 0x3e903f40
	v_pk_add_f32 v[20:21], v[20:21], v[36:37]
	v_pk_mul_f32 v[36:37], v[26:27], s[18:19] op_sel_hi:[1,0]
	v_pk_mul_f32 v[70:71], v[8:9], s[18:19] op_sel_hi:[1,0]
	v_pk_fma_f32 v[38:39], v[24:25], s[6:7], v[36:37] op_sel:[0,0,1] op_sel_hi:[1,0,0]
	v_pk_fma_f32 v[36:37], v[24:25], s[6:7], v[36:37] op_sel:[0,0,1] op_sel_hi:[1,0,0] neg_lo:[0,0,1] neg_hi:[0,0,1]
	v_mov_b32_e32 v42, v38
	v_mov_b32_e32 v43, v37
	v_pk_add_f32 v[20:21], v[20:21], v[42:43]
	v_pk_mul_f32 v[42:43], v[14:15], s[20:21] op_sel_hi:[1,0]
	v_pk_fma_f32 v[72:73], v[6:7], s[6:7], v[70:71] op_sel:[0,0,1] op_sel_hi:[1,0,0]
	v_pk_fma_f32 v[46:47], v[10:11], s[2:3], v[42:43] op_sel:[0,0,1] op_sel_hi:[1,0,0]
	v_pk_fma_f32 v[42:43], v[10:11], s[2:3], v[42:43] op_sel:[0,0,1] op_sel_hi:[1,0,0] neg_lo:[0,0,1] neg_hi:[0,0,1]
	v_mov_b32_e32 v54, v46
	v_mov_b32_e32 v55, v43
	v_pk_add_f32 v[20:21], v[20:21], v[54:55]
	v_pk_mul_f32 v[54:55], v[48:49], s[22:23] op_sel_hi:[1,0]
	v_pk_fma_f32 v[70:71], v[6:7], s[6:7], v[70:71] op_sel:[0,0,1] op_sel_hi:[1,0,0] neg_lo:[0,0,1] neg_hi:[0,0,1]
	v_pk_fma_f32 v[64:65], v[32:33], s[8:9], v[54:55] op_sel:[0,0,1] op_sel_hi:[1,0,0]
	v_pk_fma_f32 v[54:55], v[32:33], s[8:9], v[54:55] op_sel:[0,0,1] op_sel_hi:[1,0,0] neg_lo:[0,0,1] neg_hi:[0,0,1]
	v_mov_b32_e32 v66, v64
	v_mov_b32_e32 v67, v55
	v_pk_add_f32 v[20:21], v[20:21], v[66:67]
	global_store_dwordx2 v[2:3], v[20:21], off offset:352
	v_pk_mul_f32 v[20:21], v[18:19], s[4:5] op_sel_hi:[1,0]
	v_mov_b32_e32 v74, v72
	v_pk_fma_f32 v[66:67], v[16:17], s[2:3], v[20:21] op_sel:[0,0,1] op_sel_hi:[1,0,0]
	v_pk_fma_f32 v[20:21], v[16:17], s[2:3], v[20:21] op_sel:[0,0,1] op_sel_hi:[1,0,0] neg_lo:[0,0,1] neg_hi:[0,0,1]
	v_mov_b32_e32 v68, v66
	v_mov_b32_e32 v69, v21
	v_pk_add_f32 v[68:69], v[68:69], v[0:1]
	v_mov_b32_e32 v75, v71
	s_mov_b32 s18, 0x3f68dda4
	v_pk_add_f32 v[68:69], v[68:69], v[74:75]
	v_pk_mul_f32 v[74:75], v[26:27], s[18:19] op_sel_hi:[1,0]
	v_pk_mul_f32 v[90:91], v[8:9], s[20:21] op_sel_hi:[1,0]
	v_pk_fma_f32 v[76:77], v[24:25], s[0:1], v[74:75] op_sel:[0,0,1] op_sel_hi:[1,0,0]
	v_pk_fma_f32 v[74:75], v[24:25], s[0:1], v[74:75] op_sel:[0,0,1] op_sel_hi:[1,0,0] neg_lo:[0,0,1] neg_hi:[0,0,1]
	v_mov_b32_e32 v78, v76
	v_mov_b32_e32 v79, v75
	v_pk_add_f32 v[68:69], v[68:69], v[78:79]
	v_pk_mul_f32 v[78:79], v[14:15], s[14:15] op_sel_hi:[1,0]
	v_pk_fma_f32 v[92:93], v[6:7], s[2:3], v[90:91] op_sel:[0,0,1] op_sel_hi:[1,0,0]
	v_pk_fma_f32 v[80:81], v[10:11], s[8:9], v[78:79] op_sel:[0,0,1] op_sel_hi:[1,0,0]
	v_pk_fma_f32 v[78:79], v[10:11], s[8:9], v[78:79] op_sel:[0,0,1] op_sel_hi:[1,0,0] neg_lo:[0,0,1] neg_hi:[0,0,1]
	v_mov_b32_e32 v82, v80
	v_mov_b32_e32 v83, v79
	v_pk_add_f32 v[68:69], v[68:69], v[82:83]
	v_pk_mul_f32 v[82:83], v[48:49], s[12:13] op_sel_hi:[1,0]
	v_pk_fma_f32 v[90:91], v[6:7], s[2:3], v[90:91] op_sel:[0,0,1] op_sel_hi:[1,0,0] neg_lo:[0,0,1] neg_hi:[0,0,1]
	v_pk_fma_f32 v[84:85], v[32:33], s[10:11], v[82:83] op_sel:[0,0,1] op_sel_hi:[1,0,0]
	v_pk_fma_f32 v[82:83], v[32:33], s[10:11], v[82:83] op_sel:[0,0,1] op_sel_hi:[1,0,0] neg_lo:[0,0,1] neg_hi:[0,0,1]
	v_mov_b32_e32 v86, v84
	v_mov_b32_e32 v87, v83
	v_pk_add_f32 v[68:69], v[68:69], v[86:87]
	global_store_dwordx2 v[2:3], v[68:69], off offset:528
	v_pk_mul_f32 v[68:69], v[18:19], s[12:13] op_sel_hi:[1,0]
	v_mov_b32_e32 v94, v92
	v_pk_fma_f32 v[86:87], v[16:17], s[10:11], v[68:69] op_sel:[0,0,1] op_sel_hi:[1,0,0]
	v_pk_fma_f32 v[68:69], v[16:17], s[10:11], v[68:69] op_sel:[0,0,1] op_sel_hi:[1,0,0] neg_lo:[0,0,1] neg_hi:[0,0,1]
	v_mov_b32_e32 v88, v86
	v_mov_b32_e32 v89, v69
	v_pk_add_f32 v[88:89], v[88:89], v[0:1]
	v_mov_b32_e32 v95, v91
	v_pk_add_f32 v[88:89], v[88:89], v[94:95]
	v_pk_mul_f32 v[94:95], v[26:27], s[14:15] op_sel_hi:[1,0]
	v_pk_mul_f32 v[18:19], v[18:19], s[16:17] op_sel_hi:[1,0]
	v_pk_fma_f32 v[96:97], v[24:25], s[8:9], v[94:95] op_sel:[0,0,1] op_sel_hi:[1,0,0]
	v_pk_fma_f32 v[94:95], v[24:25], s[8:9], v[94:95] op_sel:[0,0,1] op_sel_hi:[1,0,0] neg_lo:[0,0,1] neg_hi:[0,0,1]
	v_mov_b32_e32 v98, v96
	v_mov_b32_e32 v99, v95
	v_pk_add_f32 v[88:89], v[88:89], v[98:99]
	v_pk_mul_f32 v[98:99], v[14:15], s[16:17] op_sel_hi:[1,0]
	v_pk_mul_f32 v[8:9], v[8:9], s[22:23] op_sel_hi:[1,0]
	v_pk_fma_f32 v[100:101], v[10:11], s[6:7], v[98:99] op_sel:[0,0,1] op_sel_hi:[1,0,0]
	v_pk_fma_f32 v[98:99], v[10:11], s[6:7], v[98:99] op_sel:[0,0,1] op_sel_hi:[1,0,0] neg_lo:[0,0,1] neg_hi:[0,0,1]
	v_mov_b32_e32 v102, v100
	v_mov_b32_e32 v103, v99
	v_pk_add_f32 v[88:89], v[88:89], v[102:103]
	v_pk_mul_f32 v[102:103], v[48:49], s[18:19] op_sel_hi:[1,0]
	v_pk_mul_f32 v[26:27], v[26:27], s[12:13] op_sel_hi:[1,0]
	v_pk_fma_f32 v[104:105], v[32:33], s[0:1], v[102:103] op_sel:[0,0,1] op_sel_hi:[1,0,0]
	v_pk_fma_f32 v[102:103], v[32:33], s[0:1], v[102:103] op_sel:[0,0,1] op_sel_hi:[1,0,0] neg_lo:[0,0,1] neg_hi:[0,0,1]
	v_mov_b32_e32 v106, v104
	v_mov_b32_e32 v107, v103
	v_pk_add_f32 v[88:89], v[88:89], v[106:107]
	global_store_dwordx2 v[2:3], v[88:89], off offset:704
	v_pk_fma_f32 v[88:89], v[16:17], s[6:7], v[18:19] op_sel:[0,0,1] op_sel_hi:[1,0,0]
	v_pk_fma_f32 v[16:17], v[16:17], s[6:7], v[18:19] op_sel:[0,0,1] op_sel_hi:[1,0,0] neg_lo:[0,0,1] neg_hi:[0,0,1]
	v_pk_fma_f32 v[18:19], v[6:7], s[8:9], v[8:9] op_sel:[0,0,1] op_sel_hi:[1,0,0]
	v_pk_fma_f32 v[6:7], v[6:7], s[8:9], v[8:9] op_sel:[0,0,1] op_sel_hi:[1,0,0] neg_lo:[0,0,1] neg_hi:[0,0,1]
	v_mov_b32_e32 v8, v88
	v_mov_b32_e32 v9, v17
	v_pk_add_f32 v[8:9], v[8:9], v[0:1]
	v_mov_b32_e32 v106, v18
	v_mov_b32_e32 v107, v7
	v_pk_add_f32 v[8:9], v[8:9], v[106:107]
	v_pk_fma_f32 v[106:107], v[24:25], s[10:11], v[26:27] op_sel:[0,0,1] op_sel_hi:[1,0,0]
	v_pk_fma_f32 v[24:25], v[24:25], s[10:11], v[26:27] op_sel:[0,0,1] op_sel_hi:[1,0,0] neg_lo:[0,0,1] neg_hi:[0,0,1]
	v_mov_b32_e32 v26, v106
	v_mov_b32_e32 v27, v25
	v_pk_mul_f32 v[14:15], v[14:15], s[18:19] op_sel_hi:[1,0]
	v_pk_add_f32 v[8:9], v[8:9], v[26:27]
	v_pk_fma_f32 v[26:27], v[10:11], s[0:1], v[14:15] op_sel:[0,0,1] op_sel_hi:[1,0,0]
	v_pk_fma_f32 v[10:11], v[10:11], s[0:1], v[14:15] op_sel:[0,0,1] op_sel_hi:[1,0,0] neg_lo:[0,0,1] neg_hi:[0,0,1]
	v_mov_b32_e32 v14, v26
	v_mov_b32_e32 v15, v11
	v_pk_add_f32 v[8:9], v[8:9], v[14:15]
	v_pk_mul_f32 v[14:15], v[48:49], s[4:5] op_sel_hi:[1,0]
	v_mov_b32_e32 v17, v89
	v_pk_fma_f32 v[48:49], v[32:33], s[2:3], v[14:15] op_sel:[0,0,1] op_sel_hi:[1,0,0]
	v_pk_fma_f32 v[14:15], v[32:33], s[2:3], v[14:15] op_sel:[0,0,1] op_sel_hi:[1,0,0] neg_lo:[0,0,1] neg_hi:[0,0,1]
	v_mov_b32_e32 v32, v48
	v_mov_b32_e32 v33, v15
	v_pk_add_f32 v[8:9], v[8:9], v[32:33]
	global_store_dwordx2 v[2:3], v[8:9], off offset:880
	v_mov_b32_e32 v7, v19
	v_pk_add_f32 v[8:9], v[16:17], v[0:1]
	v_mov_b32_e32 v25, v107
	v_pk_add_f32 v[6:7], v[8:9], v[6:7]
	;; [unrolled: 2-line block ×5, first 2 shown]
	global_store_dwordx2 v[2:3], v[6:7], off offset:1056
	v_mov_b32_e32 v91, v93
	v_pk_add_f32 v[6:7], v[68:69], v[0:1]
	v_mov_b32_e32 v95, v97
	v_pk_add_f32 v[6:7], v[6:7], v[90:91]
	;; [unrolled: 2-line block ×5, first 2 shown]
	v_mov_b32_e32 v5, v13
	v_mov_b32_e32 v41, v53
	global_store_dwordx2 v[2:3], v[6:7], off offset:1232
	v_pk_add_f32 v[6:7], v[20:21], v[0:1]
	v_mov_b32_e32 v71, v73
	v_pk_add_f32 v[4:5], v[4:5], v[0:1]
	v_mov_b32_e32 v31, v35
	;; [unrolled: 2-line block ×12, first 2 shown]
	v_pk_add_f32 v[6:7], v[6:7], v[82:83]
	v_pk_add_f32 v[4:5], v[4:5], v[54:55]
	;; [unrolled: 1-line block ×3, first 2 shown]
	global_store_dwordx2 v[2:3], v[6:7], off offset:1408
	global_store_dwordx2 v[2:3], v[4:5], off offset:1584
	;; [unrolled: 1-line block ×3, first 2 shown]
.LBB0_18:
	s_endpgm
	.section	.rodata,"a",@progbits
	.p2align	6, 0x0
	.amdhsa_kernel fft_rtc_back_len242_factors_11_2_11_wgs_110_tpt_22_sp_op_CI_CI_unitstride_sbrr_dirReg
		.amdhsa_group_segment_fixed_size 0
		.amdhsa_private_segment_fixed_size 0
		.amdhsa_kernarg_size 104
		.amdhsa_user_sgpr_count 2
		.amdhsa_user_sgpr_dispatch_ptr 0
		.amdhsa_user_sgpr_queue_ptr 0
		.amdhsa_user_sgpr_kernarg_segment_ptr 1
		.amdhsa_user_sgpr_dispatch_id 0
		.amdhsa_user_sgpr_kernarg_preload_length 0
		.amdhsa_user_sgpr_kernarg_preload_offset 0
		.amdhsa_user_sgpr_private_segment_size 0
		.amdhsa_uses_dynamic_stack 0
		.amdhsa_enable_private_segment 0
		.amdhsa_system_sgpr_workgroup_id_x 1
		.amdhsa_system_sgpr_workgroup_id_y 0
		.amdhsa_system_sgpr_workgroup_id_z 0
		.amdhsa_system_sgpr_workgroup_info 0
		.amdhsa_system_vgpr_workitem_id 0
		.amdhsa_next_free_vgpr 118
		.amdhsa_next_free_sgpr 30
		.amdhsa_accum_offset 120
		.amdhsa_reserve_vcc 1
		.amdhsa_float_round_mode_32 0
		.amdhsa_float_round_mode_16_64 0
		.amdhsa_float_denorm_mode_32 3
		.amdhsa_float_denorm_mode_16_64 3
		.amdhsa_dx10_clamp 1
		.amdhsa_ieee_mode 1
		.amdhsa_fp16_overflow 0
		.amdhsa_tg_split 0
		.amdhsa_exception_fp_ieee_invalid_op 0
		.amdhsa_exception_fp_denorm_src 0
		.amdhsa_exception_fp_ieee_div_zero 0
		.amdhsa_exception_fp_ieee_overflow 0
		.amdhsa_exception_fp_ieee_underflow 0
		.amdhsa_exception_fp_ieee_inexact 0
		.amdhsa_exception_int_div_zero 0
	.end_amdhsa_kernel
	.text
.Lfunc_end0:
	.size	fft_rtc_back_len242_factors_11_2_11_wgs_110_tpt_22_sp_op_CI_CI_unitstride_sbrr_dirReg, .Lfunc_end0-fft_rtc_back_len242_factors_11_2_11_wgs_110_tpt_22_sp_op_CI_CI_unitstride_sbrr_dirReg
                                        ; -- End function
	.section	.AMDGPU.csdata,"",@progbits
; Kernel info:
; codeLenInByte = 6280
; NumSgprs: 36
; NumVgprs: 118
; NumAgprs: 0
; TotalNumVgprs: 118
; ScratchSize: 0
; MemoryBound: 0
; FloatMode: 240
; IeeeMode: 1
; LDSByteSize: 0 bytes/workgroup (compile time only)
; SGPRBlocks: 4
; VGPRBlocks: 14
; NumSGPRsForWavesPerEU: 36
; NumVGPRsForWavesPerEU: 118
; AccumOffset: 120
; Occupancy: 4
; WaveLimiterHint : 1
; COMPUTE_PGM_RSRC2:SCRATCH_EN: 0
; COMPUTE_PGM_RSRC2:USER_SGPR: 2
; COMPUTE_PGM_RSRC2:TRAP_HANDLER: 0
; COMPUTE_PGM_RSRC2:TGID_X_EN: 1
; COMPUTE_PGM_RSRC2:TGID_Y_EN: 0
; COMPUTE_PGM_RSRC2:TGID_Z_EN: 0
; COMPUTE_PGM_RSRC2:TIDIG_COMP_CNT: 0
; COMPUTE_PGM_RSRC3_GFX90A:ACCUM_OFFSET: 29
; COMPUTE_PGM_RSRC3_GFX90A:TG_SPLIT: 0
	.text
	.p2alignl 6, 3212836864
	.fill 256, 4, 3212836864
	.type	__hip_cuid_278a4efd773e59cc,@object ; @__hip_cuid_278a4efd773e59cc
	.section	.bss,"aw",@nobits
	.globl	__hip_cuid_278a4efd773e59cc
__hip_cuid_278a4efd773e59cc:
	.byte	0                               ; 0x0
	.size	__hip_cuid_278a4efd773e59cc, 1

	.ident	"AMD clang version 19.0.0git (https://github.com/RadeonOpenCompute/llvm-project roc-6.4.0 25133 c7fe45cf4b819c5991fe208aaa96edf142730f1d)"
	.section	".note.GNU-stack","",@progbits
	.addrsig
	.addrsig_sym __hip_cuid_278a4efd773e59cc
	.amdgpu_metadata
---
amdhsa.kernels:
  - .agpr_count:     0
    .args:
      - .actual_access:  read_only
        .address_space:  global
        .offset:         0
        .size:           8
        .value_kind:     global_buffer
      - .offset:         8
        .size:           8
        .value_kind:     by_value
      - .actual_access:  read_only
        .address_space:  global
        .offset:         16
        .size:           8
        .value_kind:     global_buffer
      - .actual_access:  read_only
        .address_space:  global
        .offset:         24
        .size:           8
        .value_kind:     global_buffer
      - .actual_access:  read_only
        .address_space:  global
        .offset:         32
        .size:           8
        .value_kind:     global_buffer
      - .offset:         40
        .size:           8
        .value_kind:     by_value
      - .actual_access:  read_only
        .address_space:  global
        .offset:         48
        .size:           8
        .value_kind:     global_buffer
      - .actual_access:  read_only
        .address_space:  global
        .offset:         56
        .size:           8
        .value_kind:     global_buffer
      - .offset:         64
        .size:           4
        .value_kind:     by_value
      - .actual_access:  read_only
        .address_space:  global
        .offset:         72
        .size:           8
        .value_kind:     global_buffer
      - .actual_access:  read_only
        .address_space:  global
        .offset:         80
        .size:           8
        .value_kind:     global_buffer
      - .actual_access:  read_only
        .address_space:  global
        .offset:         88
        .size:           8
        .value_kind:     global_buffer
      - .actual_access:  write_only
        .address_space:  global
        .offset:         96
        .size:           8
        .value_kind:     global_buffer
    .group_segment_fixed_size: 0
    .kernarg_segment_align: 8
    .kernarg_segment_size: 104
    .language:       OpenCL C
    .language_version:
      - 2
      - 0
    .max_flat_workgroup_size: 110
    .name:           fft_rtc_back_len242_factors_11_2_11_wgs_110_tpt_22_sp_op_CI_CI_unitstride_sbrr_dirReg
    .private_segment_fixed_size: 0
    .sgpr_count:     36
    .sgpr_spill_count: 0
    .symbol:         fft_rtc_back_len242_factors_11_2_11_wgs_110_tpt_22_sp_op_CI_CI_unitstride_sbrr_dirReg.kd
    .uniform_work_group_size: 1
    .uses_dynamic_stack: false
    .vgpr_count:     118
    .vgpr_spill_count: 0
    .wavefront_size: 64
amdhsa.target:   amdgcn-amd-amdhsa--gfx950
amdhsa.version:
  - 1
  - 2
...

	.end_amdgpu_metadata
